;; amdgpu-corpus repo=ROCm/rocFFT kind=compiled arch=gfx1030 opt=O3
	.text
	.amdgcn_target "amdgcn-amd-amdhsa--gfx1030"
	.amdhsa_code_object_version 6
	.protected	fft_rtc_fwd_len60_factors_6_10_wgs_60_tpt_10_halfLds_dp_op_CI_CI_sbrr_dirReg ; -- Begin function fft_rtc_fwd_len60_factors_6_10_wgs_60_tpt_10_halfLds_dp_op_CI_CI_sbrr_dirReg
	.globl	fft_rtc_fwd_len60_factors_6_10_wgs_60_tpt_10_halfLds_dp_op_CI_CI_sbrr_dirReg
	.p2align	8
	.type	fft_rtc_fwd_len60_factors_6_10_wgs_60_tpt_10_halfLds_dp_op_CI_CI_sbrr_dirReg,@function
fft_rtc_fwd_len60_factors_6_10_wgs_60_tpt_10_halfLds_dp_op_CI_CI_sbrr_dirReg: ; @fft_rtc_fwd_len60_factors_6_10_wgs_60_tpt_10_halfLds_dp_op_CI_CI_sbrr_dirReg
; %bb.0:
	s_clause 0x1
	s_load_dwordx4 s[16:19], s[4:5], 0x18
	s_load_dwordx4 s[12:15], s[4:5], 0x0
	v_mul_u32_u24_e32 v1, 0x199a, v0
	v_mov_b32_e32 v6, 0
	s_load_dwordx4 s[8:11], s[4:5], 0x58
	s_waitcnt lgkmcnt(0)
	s_load_dwordx2 s[20:21], s[16:17], 0x0
	s_load_dwordx2 s[2:3], s[18:19], 0x0
	v_lshrrev_b32_e32 v1, 16, v1
	v_cmp_lt_u64_e64 s0, s[14:15], 2
	v_mad_u64_u32 v[4:5], null, s6, 6, v[1:2]
	v_mov_b32_e32 v1, 0
	v_mov_b32_e32 v2, 0
	;; [unrolled: 1-line block ×3, first 2 shown]
	s_and_b32 vcc_lo, exec_lo, s0
	v_mov_b32_e32 v57, v2
	v_mov_b32_e32 v59, v5
	;; [unrolled: 1-line block ×4, first 2 shown]
	s_cbranch_vccnz .LBB0_8
; %bb.1:
	s_load_dwordx2 s[0:1], s[4:5], 0x10
	v_mov_b32_e32 v1, 0
	v_mov_b32_e32 v2, 0
	s_add_u32 s6, s18, 8
	v_mov_b32_e32 v9, v5
	s_addc_u32 s7, s19, 0
	v_mov_b32_e32 v8, v4
	v_mov_b32_e32 v57, v2
	s_add_u32 s22, s16, 8
	v_mov_b32_e32 v56, v1
	s_addc_u32 s23, s17, 0
	s_mov_b64 s[26:27], 1
	s_waitcnt lgkmcnt(0)
	s_add_u32 s24, s0, 8
	s_addc_u32 s25, s1, 0
.LBB0_2:                                ; =>This Inner Loop Header: Depth=1
	s_load_dwordx2 s[28:29], s[24:25], 0x0
                                        ; implicit-def: $vgpr58_vgpr59
	s_mov_b32 s0, exec_lo
	s_waitcnt lgkmcnt(0)
	v_or_b32_e32 v7, s29, v9
	v_cmpx_ne_u64_e32 0, v[6:7]
	s_xor_b32 s1, exec_lo, s0
	s_cbranch_execz .LBB0_4
; %bb.3:                                ;   in Loop: Header=BB0_2 Depth=1
	v_cvt_f32_u32_e32 v3, s28
	v_cvt_f32_u32_e32 v5, s29
	s_sub_u32 s0, 0, s28
	s_subb_u32 s30, 0, s29
	v_fmac_f32_e32 v3, 0x4f800000, v5
	v_rcp_f32_e32 v3, v3
	v_mul_f32_e32 v3, 0x5f7ffffc, v3
	v_mul_f32_e32 v5, 0x2f800000, v3
	v_trunc_f32_e32 v5, v5
	v_fmac_f32_e32 v3, 0xcf800000, v5
	v_cvt_u32_f32_e32 v5, v5
	v_cvt_u32_f32_e32 v3, v3
	v_mul_lo_u32 v7, s0, v5
	v_mul_hi_u32 v10, s0, v3
	v_mul_lo_u32 v11, s30, v3
	v_add_nc_u32_e32 v7, v10, v7
	v_mul_lo_u32 v10, s0, v3
	v_add_nc_u32_e32 v7, v7, v11
	v_mul_hi_u32 v11, v3, v10
	v_mul_lo_u32 v12, v3, v7
	v_mul_hi_u32 v13, v3, v7
	v_mul_hi_u32 v14, v5, v10
	v_mul_lo_u32 v10, v5, v10
	v_mul_hi_u32 v15, v5, v7
	v_mul_lo_u32 v7, v5, v7
	v_add_co_u32 v11, vcc_lo, v11, v12
	v_add_co_ci_u32_e32 v12, vcc_lo, 0, v13, vcc_lo
	v_add_co_u32 v10, vcc_lo, v11, v10
	v_add_co_ci_u32_e32 v10, vcc_lo, v12, v14, vcc_lo
	v_add_co_ci_u32_e32 v11, vcc_lo, 0, v15, vcc_lo
	v_add_co_u32 v7, vcc_lo, v10, v7
	v_add_co_ci_u32_e32 v10, vcc_lo, 0, v11, vcc_lo
	v_add_co_u32 v3, vcc_lo, v3, v7
	v_add_co_ci_u32_e32 v5, vcc_lo, v5, v10, vcc_lo
	v_mul_hi_u32 v7, s0, v3
	v_mul_lo_u32 v11, s30, v3
	v_mul_lo_u32 v10, s0, v5
	v_add_nc_u32_e32 v7, v7, v10
	v_mul_lo_u32 v10, s0, v3
	v_add_nc_u32_e32 v7, v7, v11
	v_mul_hi_u32 v11, v3, v10
	v_mul_lo_u32 v12, v3, v7
	v_mul_hi_u32 v13, v3, v7
	v_mul_hi_u32 v14, v5, v10
	v_mul_lo_u32 v10, v5, v10
	v_mul_hi_u32 v15, v5, v7
	v_mul_lo_u32 v7, v5, v7
	v_add_co_u32 v11, vcc_lo, v11, v12
	v_add_co_ci_u32_e32 v12, vcc_lo, 0, v13, vcc_lo
	v_add_co_u32 v10, vcc_lo, v11, v10
	v_add_co_ci_u32_e32 v10, vcc_lo, v12, v14, vcc_lo
	v_add_co_ci_u32_e32 v11, vcc_lo, 0, v15, vcc_lo
	v_add_co_u32 v7, vcc_lo, v10, v7
	v_add_co_ci_u32_e32 v10, vcc_lo, 0, v11, vcc_lo
	v_add_co_u32 v3, vcc_lo, v3, v7
	v_add_co_ci_u32_e32 v5, vcc_lo, v5, v10, vcc_lo
	v_mul_hi_u32 v7, v8, v3
	v_mad_u64_u32 v[12:13], null, v9, v3, 0
	v_mad_u64_u32 v[10:11], null, v8, v5, 0
	v_mad_u64_u32 v[14:15], null, v9, v5, 0
	v_add_co_u32 v3, vcc_lo, v7, v10
	v_add_co_ci_u32_e32 v5, vcc_lo, 0, v11, vcc_lo
	v_add_co_u32 v3, vcc_lo, v3, v12
	v_add_co_ci_u32_e32 v3, vcc_lo, v5, v13, vcc_lo
	v_add_co_ci_u32_e32 v5, vcc_lo, 0, v15, vcc_lo
	v_add_co_u32 v3, vcc_lo, v3, v14
	v_add_co_ci_u32_e32 v5, vcc_lo, 0, v5, vcc_lo
	v_mul_lo_u32 v7, s29, v3
	v_mad_u64_u32 v[10:11], null, s28, v3, 0
	v_mul_lo_u32 v12, s28, v5
	v_sub_co_u32 v10, vcc_lo, v8, v10
	v_add3_u32 v7, v11, v12, v7
	v_sub_nc_u32_e32 v11, v9, v7
	v_subrev_co_ci_u32_e64 v11, s0, s29, v11, vcc_lo
	v_add_co_u32 v12, s0, v3, 2
	v_add_co_ci_u32_e64 v13, s0, 0, v5, s0
	v_sub_co_u32 v14, s0, v10, s28
	v_sub_co_ci_u32_e32 v7, vcc_lo, v9, v7, vcc_lo
	v_subrev_co_ci_u32_e64 v11, s0, 0, v11, s0
	v_cmp_le_u32_e32 vcc_lo, s28, v14
	v_cmp_eq_u32_e64 s0, s29, v7
	v_cndmask_b32_e64 v14, 0, -1, vcc_lo
	v_cmp_le_u32_e32 vcc_lo, s29, v11
	v_cndmask_b32_e64 v15, 0, -1, vcc_lo
	v_cmp_le_u32_e32 vcc_lo, s28, v10
	;; [unrolled: 2-line block ×3, first 2 shown]
	v_cndmask_b32_e64 v16, 0, -1, vcc_lo
	v_cmp_eq_u32_e32 vcc_lo, s29, v11
	v_cndmask_b32_e64 v7, v16, v10, s0
	v_cndmask_b32_e32 v11, v15, v14, vcc_lo
	v_add_co_u32 v14, vcc_lo, v3, 1
	v_add_co_ci_u32_e32 v15, vcc_lo, 0, v5, vcc_lo
	v_cmp_ne_u32_e32 vcc_lo, 0, v11
	v_cndmask_b32_e32 v10, v15, v13, vcc_lo
	v_cndmask_b32_e32 v11, v14, v12, vcc_lo
	v_cmp_ne_u32_e32 vcc_lo, 0, v7
	v_cndmask_b32_e32 v59, v5, v10, vcc_lo
	v_cndmask_b32_e32 v58, v3, v11, vcc_lo
.LBB0_4:                                ;   in Loop: Header=BB0_2 Depth=1
	s_andn2_saveexec_b32 s0, s1
	s_cbranch_execz .LBB0_6
; %bb.5:                                ;   in Loop: Header=BB0_2 Depth=1
	v_cvt_f32_u32_e32 v3, s28
	s_sub_i32 s1, 0, s28
	v_mov_b32_e32 v59, v6
	v_rcp_iflag_f32_e32 v3, v3
	v_mul_f32_e32 v3, 0x4f7ffffe, v3
	v_cvt_u32_f32_e32 v3, v3
	v_mul_lo_u32 v5, s1, v3
	v_mul_hi_u32 v5, v3, v5
	v_add_nc_u32_e32 v3, v3, v5
	v_mul_hi_u32 v3, v8, v3
	v_mul_lo_u32 v5, v3, s28
	v_add_nc_u32_e32 v7, 1, v3
	v_sub_nc_u32_e32 v5, v8, v5
	v_subrev_nc_u32_e32 v10, s28, v5
	v_cmp_le_u32_e32 vcc_lo, s28, v5
	v_cndmask_b32_e32 v5, v5, v10, vcc_lo
	v_cndmask_b32_e32 v3, v3, v7, vcc_lo
	v_cmp_le_u32_e32 vcc_lo, s28, v5
	v_add_nc_u32_e32 v7, 1, v3
	v_cndmask_b32_e32 v58, v3, v7, vcc_lo
.LBB0_6:                                ;   in Loop: Header=BB0_2 Depth=1
	s_or_b32 exec_lo, exec_lo, s0
	v_mul_lo_u32 v3, v59, s28
	v_mul_lo_u32 v5, v58, s29
	s_load_dwordx2 s[0:1], s[22:23], 0x0
	v_mad_u64_u32 v[10:11], null, v58, s28, 0
	s_load_dwordx2 s[28:29], s[6:7], 0x0
	s_add_u32 s26, s26, 1
	s_addc_u32 s27, s27, 0
	s_add_u32 s6, s6, 8
	s_addc_u32 s7, s7, 0
	s_add_u32 s22, s22, 8
	v_add3_u32 v3, v11, v5, v3
	v_sub_co_u32 v5, vcc_lo, v8, v10
	s_addc_u32 s23, s23, 0
	s_add_u32 s24, s24, 8
	v_sub_co_ci_u32_e32 v3, vcc_lo, v9, v3, vcc_lo
	s_addc_u32 s25, s25, 0
	s_waitcnt lgkmcnt(0)
	v_mul_lo_u32 v7, s0, v3
	v_mul_lo_u32 v8, s1, v5
	v_mad_u64_u32 v[1:2], null, s0, v5, v[1:2]
	v_mul_lo_u32 v3, s28, v3
	v_mul_lo_u32 v9, s29, v5
	v_mad_u64_u32 v[56:57], null, s28, v5, v[56:57]
	v_cmp_ge_u64_e64 s0, s[26:27], s[14:15]
	v_add3_u32 v2, v8, v2, v7
	v_add3_u32 v57, v9, v57, v3
	s_and_b32 vcc_lo, exec_lo, s0
	s_cbranch_vccnz .LBB0_8
; %bb.7:                                ;   in Loop: Header=BB0_2 Depth=1
	v_mov_b32_e32 v8, v58
	v_mov_b32_e32 v9, v59
	s_branch .LBB0_2
.LBB0_8:
	s_load_dwordx2 s[0:1], s[4:5], 0x28
	v_mul_hi_u32 v3, 0x1999999a, v0
	s_lshl_b64 s[6:7], s[14:15], 3
                                        ; implicit-def: $vgpr68
	s_add_u32 s4, s18, s6
	s_addc_u32 s5, s19, s7
	s_waitcnt lgkmcnt(0)
	v_cmp_gt_u64_e32 vcc_lo, s[0:1], v[58:59]
	v_cmp_le_u64_e64 s0, s[0:1], v[58:59]
	s_and_saveexec_b32 s1, s0
	s_xor_b32 s0, exec_lo, s1
; %bb.9:
	v_mul_u32_u24_e32 v1, 10, v3
                                        ; implicit-def: $vgpr3
	v_sub_nc_u32_e32 v68, v0, v1
                                        ; implicit-def: $vgpr0
                                        ; implicit-def: $vgpr1_vgpr2
; %bb.10:
	s_or_saveexec_b32 s14, s0
                                        ; implicit-def: $vgpr26_vgpr27
                                        ; implicit-def: $vgpr10_vgpr11
                                        ; implicit-def: $vgpr34_vgpr35
                                        ; implicit-def: $vgpr38_vgpr39
                                        ; implicit-def: $vgpr30_vgpr31
                                        ; implicit-def: $vgpr16_vgpr17
	s_xor_b32 exec_lo, exec_lo, s14
	s_cbranch_execz .LBB0_12
; %bb.11:
	s_add_u32 s0, s16, s6
	s_addc_u32 s1, s17, s7
	v_mul_u32_u24_e32 v3, 10, v3
	s_load_dwordx2 s[0:1], s[0:1], 0x0
	v_sub_nc_u32_e32 v68, v0, v3
	v_lshlrev_b64 v[0:1], 4, v[1:2]
	v_mad_u64_u32 v[2:3], null, s20, v68, 0
	v_add_nc_u32_e32 v16, 10, v68
	v_add_nc_u32_e32 v18, 20, v68
	;; [unrolled: 1-line block ×5, first 2 shown]
	v_mad_u64_u32 v[5:6], null, s20, v16, 0
	v_mad_u64_u32 v[7:8], null, s20, v18, 0
	s_waitcnt lgkmcnt(0)
	v_mul_lo_u32 v17, s1, v58
	v_mul_lo_u32 v21, s0, v59
	v_mad_u64_u32 v[9:10], null, s0, v58, 0
	v_mad_u64_u32 v[13:14], null, s21, v68, v[3:4]
	;; [unrolled: 1-line block ×4, first 2 shown]
	v_add3_u32 v10, v10, v21, v17
	v_mad_u64_u32 v[16:17], null, s21, v16, v[6:7]
	v_mov_b32_e32 v3, v13
	v_lshlrev_b64 v[9:10], 4, v[9:10]
	v_lshlrev_b64 v[2:3], 4, v[2:3]
	v_mov_b32_e32 v6, v16
	v_mad_u64_u32 v[17:18], null, s21, v18, v[8:9]
	v_add_co_u32 v8, s0, s8, v9
	v_add_co_ci_u32_e64 v9, s0, s9, v10, s0
	v_lshlrev_b64 v[5:6], 4, v[5:6]
	v_add_co_u32 v21, s0, v8, v0
	v_add_co_ci_u32_e64 v23, s0, v9, v1, s0
	v_mad_u64_u32 v[0:1], null, s21, v19, v[12:13]
	v_mad_u64_u32 v[9:10], null, s20, v22, 0
	v_add_co_u32 v1, s0, v21, v2
	v_add_co_ci_u32_e64 v2, s0, v23, v3, s0
	v_mov_b32_e32 v3, v15
	v_mov_b32_e32 v12, v0
	;; [unrolled: 1-line block ×4, first 2 shown]
	v_add_co_u32 v5, s0, v21, v5
	v_mad_u64_u32 v[15:16], null, s21, v20, v[3:4]
	v_mad_u64_u32 v[16:17], null, s21, v22, v[0:1]
	v_lshlrev_b64 v[7:8], 4, v[7:8]
	v_lshlrev_b64 v[11:12], 4, v[11:12]
	v_add_co_ci_u32_e64 v6, s0, v23, v6, s0
	v_lshlrev_b64 v[13:14], 4, v[14:15]
	v_mov_b32_e32 v10, v16
	v_add_co_u32 v7, s0, v21, v7
	v_add_co_ci_u32_e64 v8, s0, v23, v8, s0
	v_add_co_u32 v11, s0, v21, v11
	v_lshlrev_b64 v[9:10], 4, v[9:10]
	v_add_co_ci_u32_e64 v12, s0, v23, v12, s0
	v_add_co_u32 v18, s0, v21, v13
	v_add_co_ci_u32_e64 v19, s0, v23, v14, s0
	v_add_co_u32 v20, s0, v21, v9
	v_add_co_ci_u32_e64 v21, s0, v23, v10, s0
	s_clause 0x5
	global_load_dwordx4 v[14:17], v[1:2], off
	global_load_dwordx4 v[28:31], v[5:6], off
	;; [unrolled: 1-line block ×6, first 2 shown]
.LBB0_12:
	s_or_b32 exec_lo, exec_lo, s14
	s_waitcnt vmcnt(0)
	v_add_f64 v[0:1], v[24:25], v[32:33]
	v_add_f64 v[2:3], v[26:27], v[34:35]
	v_add_f64 v[5:6], v[34:35], -v[26:27]
	s_mov_b32 s6, 0xe8584caa
	s_mov_b32 s7, 0x3febb67a
	;; [unrolled: 1-line block ×4, first 2 shown]
	v_add_f64 v[12:13], v[8:9], v[36:37]
	v_add_f64 v[20:21], v[32:33], -v[24:25]
	v_add_f64 v[22:23], v[32:33], v[28:29]
	s_load_dwordx2 s[4:5], s[4:5], 0x0
	v_cmp_gt_u32_e64 s0, 6, v68
	v_lshlrev_b32_e32 v42, 3, v68
                                        ; implicit-def: $vgpr60_vgpr61
	v_fma_f64 v[0:1], v[0:1], -0.5, v[28:29]
	v_fma_f64 v[2:3], v[2:3], -0.5, v[30:31]
	;; [unrolled: 1-line block ×3, first 2 shown]
	v_add_f64 v[22:23], v[24:25], v[22:23]
	v_fma_f64 v[40:41], v[5:6], s[6:7], v[0:1]
	v_fma_f64 v[18:19], v[5:6], s[8:9], v[0:1]
	v_add_f64 v[0:1], v[36:37], v[14:15]
	v_add_f64 v[5:6], v[38:39], -v[10:11]
	v_fma_f64 v[28:29], v[20:21], s[8:9], v[2:3]
	v_fma_f64 v[32:33], v[20:21], s[6:7], v[2:3]
	v_mul_f64 v[2:3], v[40:41], 0.5
	v_mul_f64 v[14:15], v[18:19], -0.5
	v_add_f64 v[20:21], v[8:9], v[0:1]
	v_fma_f64 v[24:25], v[5:6], s[6:7], v[12:13]
	v_fma_f64 v[5:6], v[5:6], s[8:9], v[12:13]
	v_mul_hi_u32 v0, 0xaaaaaaab, v4
	v_lshrrev_b32_e32 v0, 2, v0
	v_mul_lo_u32 v7, v0, 6
	v_fma_f64 v[12:13], v[28:29], s[6:7], v[2:3]
	v_fma_f64 v[14:15], v[32:33], s[6:7], v[14:15]
	v_add_f64 v[0:1], v[22:23], v[20:21]
	v_add_f64 v[22:23], v[20:21], -v[22:23]
	v_add_f64 v[2:3], v[24:25], v[12:13]
	v_add_f64 v[20:21], v[5:6], v[14:15]
	v_add_f64 v[12:13], v[24:25], -v[12:13]
	v_add_f64 v[14:15], v[5:6], -v[14:15]
	v_mul_u32_u24_e32 v5, 6, v68
	v_sub_nc_u32_e32 v6, v4, v7
                                        ; implicit-def: $vgpr24_vgpr25
	v_lshl_add_u32 v4, v5, 3, 0
	v_mul_u32_u24_e32 v5, 60, v6
                                        ; implicit-def: $vgpr6_vgpr7
	v_lshl_add_u32 v44, v5, 3, v4
	v_lshlrev_b32_e32 v43, 3, v5
	ds_write_b128 v44, v[0:3]
	ds_write_b128 v44, v[20:23] offset:16
	ds_write_b128 v44, v[12:15] offset:32
	s_waitcnt lgkmcnt(0)
	s_barrier
	buffer_gl0_inv
	s_and_saveexec_b32 s1, s0
	s_cbranch_execz .LBB0_14
; %bb.13:
	v_mul_i32_i24_e32 v0, 0xffffffd8, v68
	v_add3_u32 v2, v4, v0, v43
	v_add3_u32 v0, 0, v43, v42
	ds_read2_b64 v[22:25], v2 offset0:30 offset1:36
	ds_read2_b64 v[45:48], v2 offset0:18 offset1:24
	ds_read2_b64 v[49:52], v2 offset0:6 offset1:12
	ds_read2_b64 v[4:7], v2 offset0:42 offset1:48
	ds_read_b64 v[0:1], v0
	ds_read_b64 v[60:61], v2 offset:432
	s_waitcnt lgkmcnt(3)
	v_mov_b32_e32 v20, v51
	v_mov_b32_e32 v14, v22
	;; [unrolled: 1-line block ×10, first 2 shown]
.LBB0_14:
	s_or_b32 exec_lo, exec_lo, s1
	v_add_f64 v[45:46], v[10:11], v[38:39]
	v_add_f64 v[38:39], v[38:39], v[16:17]
	v_add_f64 v[8:9], v[36:37], -v[8:9]
	v_add_f64 v[30:31], v[34:35], v[30:31]
	v_mul_f64 v[34:35], v[40:41], s[8:9]
	v_mul_f64 v[32:33], v[32:33], -0.5
	s_waitcnt lgkmcnt(0)
	s_barrier
	buffer_gl0_inv
                                        ; implicit-def: $vgpr62_vgpr63
                                        ; implicit-def: $vgpr54_vgpr55
	v_fma_f64 v[16:17], v[45:46], -0.5, v[16:17]
	v_add_f64 v[10:11], v[10:11], v[38:39]
	v_add_f64 v[26:27], v[26:27], v[30:31]
	v_fma_f64 v[28:29], v[28:29], 0.5, v[34:35]
	v_fma_f64 v[18:19], v[18:19], s[8:9], v[32:33]
	v_fma_f64 v[34:35], v[8:9], s[8:9], v[16:17]
	;; [unrolled: 1-line block ×3, first 2 shown]
	v_add_f64 v[8:9], v[26:27], v[10:11]
	v_add_f64 v[32:33], v[10:11], -v[26:27]
	v_add_f64 v[10:11], v[34:35], v[28:29]
	v_add_f64 v[30:31], v[16:17], v[18:19]
	v_add_f64 v[26:27], v[34:35], -v[28:29]
	v_add_f64 v[28:29], v[16:17], -v[18:19]
                                        ; implicit-def: $vgpr18_vgpr19
	ds_write_b128 v44, v[8:11]
	ds_write_b128 v44, v[30:33] offset:16
	ds_write_b128 v44, v[26:29] offset:32
	s_waitcnt lgkmcnt(0)
	s_barrier
	buffer_gl0_inv
	s_and_saveexec_b32 s1, s0
	s_cbranch_execz .LBB0_16
; %bb.15:
	v_add3_u32 v10, 0, v42, v43
	v_add3_u32 v8, 0, v43, v42
	ds_read2_b64 v[52:55], v10 offset0:30 offset1:36
	ds_read2_b64 v[30:33], v10 offset0:18 offset1:24
	;; [unrolled: 1-line block ×4, first 2 shown]
	ds_read_b64 v[8:9], v8
	ds_read_b64 v[62:63], v10 offset:432
	s_waitcnt lgkmcnt(3)
	v_mov_b32_e32 v10, v34
	v_mov_b32_e32 v28, v52
	;; [unrolled: 1-line block ×10, first 2 shown]
.LBB0_16:
	s_or_b32 exec_lo, exec_lo, s1
	v_cmp_gt_u32_e64 s1, 6, v68
	s_and_b32 s1, vcc_lo, s1
	s_and_saveexec_b32 s6, s1
	s_cbranch_execz .LBB0_18
; %bb.17:
	v_add_nc_u32_e32 v34, -6, v68
	v_mov_b32_e32 v35, 0
	v_add_nc_u32_e32 v87, 6, v68
	v_add_nc_u32_e32 v88, 12, v68
	v_add_nc_u32_e32 v89, 18, v68
	v_cndmask_b32_e64 v34, v34, v68, s0
	v_or_b32_e32 v90, 24, v68
	v_add_nc_u32_e32 v91, 30, v68
	v_add_nc_u32_e32 v92, 36, v68
	v_mad_u64_u32 v[79:80], null, s2, v89, 0
	v_mul_i32_i24_e32 v34, 9, v34
	v_mul_lo_u32 v85, s5, v58
	v_mul_lo_u32 v86, s4, v59
	v_mad_u64_u32 v[58:59], null, s4, v58, 0
	v_lshlrev_b64 v[34:35], 4, v[34:35]
	v_add_nc_u32_e32 v93, 42, v68
	v_mad_u64_u32 v[81:82], null, s2, v92, 0
	v_mad_u64_u32 v[75:76], null, s2, v68, 0
	v_add_co_u32 v64, vcc_lo, s12, v34
	v_add_co_ci_u32_e32 v65, vcc_lo, s13, v35, vcc_lo
	v_mad_u64_u32 v[83:84], null, s2, v93, 0
	s_clause 0x4
	global_load_dwordx4 v[34:37], v[64:65], off offset:80
	global_load_dwordx4 v[46:49], v[64:65], off offset:16
	;; [unrolled: 1-line block ×5, first 2 shown]
	v_add3_u32 v59, v59, v86, v85
	global_load_dwordx4 v[69:72], v[64:65], off
	s_mov_b32 s0, 0x134454ff
	s_mov_b32 s1, 0x3fee6f0e
	;; [unrolled: 1-line block ×3, first 2 shown]
	v_lshlrev_b64 v[58:59], 4, v[58:59]
	s_mov_b32 s5, 0x3fe2cf23
	s_mov_b32 s7, 0xbfe2cf23
	;; [unrolled: 1-line block ×5, first 2 shown]
	s_waitcnt vmcnt(5)
	v_mul_f64 v[66:67], v[54:55], v[34:35]
	v_mul_f64 v[54:55], v[54:55], v[36:37]
	s_waitcnt vmcnt(4)
	v_mul_f64 v[73:74], v[30:31], v[46:47]
	v_mul_f64 v[30:31], v[30:31], v[48:49]
	;; [unrolled: 3-line block ×3, first 2 shown]
	v_fma_f64 v[36:37], v[24:25], v[36:37], v[66:67]
	v_fma_f64 v[34:35], v[24:25], v[34:35], -v[54:55]
	v_mad_u64_u32 v[54:55], null, s2, v87, 0
	v_mad_u64_u32 v[66:67], null, s2, v88, 0
	v_fma_f64 v[48:49], v[20:21], v[48:49], v[73:74]
	v_fma_f64 v[30:31], v[20:21], v[46:47], -v[30:31]
	v_mad_u64_u32 v[46:47], null, s2, v90, 0
	v_mad_u64_u32 v[73:74], null, s2, v91, 0
	v_mov_b32_e32 v20, v55
	v_mov_b32_e32 v21, v67
	v_fma_f64 v[77:78], v[22:23], v[42:43], -v[77:78]
	v_mov_b32_e32 v22, v80
	v_mov_b32_e32 v23, v47
	v_fma_f64 v[32:33], v[32:33], v[42:43], v[44:45]
	v_mov_b32_e32 v24, v74
	v_mad_u64_u32 v[42:43], null, s3, v87, v[20:21]
	v_mad_u64_u32 v[20:21], null, s3, v88, v[21:22]
	;; [unrolled: 1-line block ×4, first 2 shown]
	v_mov_b32_e32 v21, v82
	v_mad_u64_u32 v[24:25], null, s3, v91, v[24:25]
	v_mov_b32_e32 v23, v76
	v_or_b32_e32 v25, 48, v68
	v_lshlrev_b64 v[55:56], 4, v[56:57]
	v_mad_u64_u32 v[44:45], null, s3, v92, v[21:22]
	v_mov_b32_e32 v21, v84
	v_mad_u64_u32 v[84:85], null, s3, v68, v[23:24]
	v_add_nc_u32_e32 v45, 54, v68
	v_mov_b32_e32 v80, v43
	v_mad_u64_u32 v[85:86], null, s3, v93, v[21:22]
	v_add_co_u32 v21, vcc_lo, s10, v58
	v_mad_u64_u32 v[57:58], null, s2, v25, 0
	v_mad_u64_u32 v[86:87], null, s2, v45, 0
	v_add_co_ci_u32_e32 v23, vcc_lo, s11, v59, vcc_lo
	v_add_co_u32 v98, vcc_lo, v21, v55
	v_mov_b32_e32 v21, v58
	v_mov_b32_e32 v55, v42
	s_waitcnt vmcnt(2)
	v_mul_f64 v[42:43], v[26:27], v[50:51]
	v_add_co_ci_u32_e32 v99, vcc_lo, v23, v56, vcc_lo
	v_mad_u64_u32 v[58:59], null, s3, v25, v[21:22]
	v_mov_b32_e32 v21, v87
	v_mul_f64 v[25:26], v[26:27], v[52:53]
	v_mov_b32_e32 v67, v20
	v_mov_b32_e32 v47, v22
	;; [unrolled: 1-line block ×3, first 2 shown]
	v_mad_u64_u32 v[87:88], null, s3, v45, v[21:22]
	s_waitcnt vmcnt(1)
	v_mul_f64 v[88:89], v[28:29], v[40:41]
	v_mov_b32_e32 v82, v44
	global_load_dwordx4 v[20:23], v[64:65], off offset:112
	v_mul_f64 v[40:41], v[14:15], v[40:41]
	v_mov_b32_e32 v76, v84
	v_lshlrev_b64 v[54:55], 4, v[54:55]
	v_lshlrev_b64 v[66:67], 4, v[66:67]
	s_mov_b32 s3, 0xbfee6f0e
	s_mov_b32 s2, s0
	;; [unrolled: 1-line block ×3, first 2 shown]
	v_fma_f64 v[42:43], v[12:13], v[52:53], v[42:43]
	s_mov_b32 s11, 0x3fe9e377
	v_lshlrev_b64 v[56:57], 4, v[57:58]
	v_lshlrev_b64 v[46:47], 4, v[46:47]
	;; [unrolled: 1-line block ×3, first 2 shown]
	v_mov_b32_e32 v84, v85
	v_fma_f64 v[44:45], v[12:13], v[50:51], -v[25:26]
	global_load_dwordx4 v[24:27], v[64:65], off offset:96
	v_lshlrev_b64 v[81:82], 4, v[81:82]
	v_lshlrev_b64 v[85:86], 4, v[86:87]
	;; [unrolled: 1-line block ×3, first 2 shown]
	v_fma_f64 v[50:51], v[14:15], v[38:39], -v[88:89]
	global_load_dwordx4 v[12:15], v[64:65], off offset:128
	v_lshlrev_b64 v[64:65], 4, v[75:76]
	v_fma_f64 v[28:29], v[28:29], v[38:39], v[40:41]
	v_lshlrev_b64 v[75:76], 4, v[79:80]
	v_add_f64 v[88:89], v[50:51], -v[77:78]
	v_add_f64 v[90:91], v[28:29], -v[32:33]
	s_waitcnt vmcnt(2) lgkmcnt(2)
	v_mul_f64 v[52:53], v[18:19], v[20:21]
	v_mul_f64 v[18:19], v[18:19], v[22:23]
	s_waitcnt vmcnt(1)
	v_mul_f64 v[38:39], v[16:17], v[26:27]
	v_mul_f64 v[26:27], v[4:5], v[26:27]
	s_waitcnt vmcnt(0) lgkmcnt(0)
	v_mul_f64 v[40:41], v[62:63], v[14:15]
	v_mul_f64 v[14:15], v[60:61], v[14:15]
	v_fma_f64 v[22:23], v[6:7], v[22:23], v[52:53]
	v_fma_f64 v[6:7], v[6:7], v[20:21], -v[18:19]
	v_add_co_u32 v52, vcc_lo, v98, v64
	v_add_co_ci_u32_e32 v53, vcc_lo, v99, v65, vcc_lo
	v_mul_f64 v[20:21], v[2:3], v[71:72]
	v_fma_f64 v[4:5], v[4:5], v[24:25], -v[38:39]
	v_fma_f64 v[16:17], v[16:17], v[24:25], v[26:27]
	v_add_f64 v[24:25], v[42:43], v[36:37]
	v_add_f64 v[38:39], v[44:45], v[34:35]
	v_fma_f64 v[18:19], v[60:61], v[12:13], -v[40:41]
	v_fma_f64 v[12:13], v[62:63], v[12:13], v[14:15]
	v_add_co_u32 v40, vcc_lo, v98, v54
	v_add_co_ci_u32_e32 v41, vcc_lo, v99, v55, vcc_lo
	v_add_co_u32 v54, vcc_lo, v98, v66
	v_add_co_ci_u32_e32 v55, vcc_lo, v99, v67, vcc_lo
	v_add_co_u32 v61, vcc_lo, v98, v75
	v_mul_f64 v[14:15], v[10:11], v[71:72]
	v_add_f64 v[26:27], v[48:49], v[22:23]
	v_add_f64 v[59:60], v[30:31], v[6:7]
	v_add_co_ci_u32_e32 v62, vcc_lo, v99, v76, vcc_lo
	v_add_f64 v[63:64], v[48:49], -v[42:43]
	v_add_f64 v[65:66], v[22:23], -v[36:37]
	;; [unrolled: 1-line block ×4, first 2 shown]
	v_fma_f64 v[10:11], v[10:11], v[69:70], v[20:21]
	v_add_f64 v[71:72], v[18:19], -v[4:5]
	v_add_f64 v[79:80], v[12:13], -v[16:17]
	v_add_f64 v[20:21], v[0:1], v[30:31]
	v_fma_f64 v[24:25], v[24:25], -0.5, v[8:9]
	v_fma_f64 v[38:39], v[38:39], -0.5, v[0:1]
	v_add_co_u32 v46, vcc_lo, v98, v46
	v_add_co_ci_u32_e32 v47, vcc_lo, v99, v47, vcc_lo
	v_fma_f64 v[2:3], v[2:3], v[69:70], -v[14:15]
	v_add_f64 v[14:15], v[8:9], v[48:49]
	v_add_f64 v[69:70], v[42:43], -v[48:49]
	v_fma_f64 v[8:9], v[26:27], -0.5, v[8:9]
	v_add_f64 v[26:27], v[36:37], -v[22:23]
	v_fma_f64 v[0:1], v[59:60], -0.5, v[0:1]
	v_add_f64 v[59:60], v[4:5], -v[18:19]
	v_add_f64 v[63:64], v[63:64], v[65:66]
	v_add_f64 v[65:66], v[16:17], -v[12:13]
	v_add_f64 v[48:49], v[48:49], -v[22:23]
	v_add_f64 v[67:68], v[67:68], v[71:72]
	v_add_f64 v[71:72], v[30:31], -v[44:45]
	v_add_f64 v[75:76], v[75:76], v[79:80]
	;; [unrolled: 2-line block ×3, first 2 shown]
	v_add_f64 v[14:15], v[14:15], v[42:43]
	v_add_f64 v[42:43], v[42:43], -v[36:37]
	v_add_f64 v[26:27], v[69:70], v[26:27]
	v_add_f64 v[69:70], v[44:45], -v[30:31]
	;; [unrolled: 2-line block ×3, first 2 shown]
	v_add_f64 v[65:66], v[90:91], v[65:66]
	v_add_f64 v[90:91], v[50:51], v[4:5]
	v_add_f64 v[44:45], v[44:45], -v[34:35]
	v_add_f64 v[30:31], v[30:31], -v[6:7]
	v_add_f64 v[71:72], v[71:72], v[79:80]
	v_add_f64 v[79:80], v[77:78], v[18:19]
	v_add_f64 v[14:15], v[14:15], v[36:37]
	v_add_f64 v[36:37], v[28:29], v[16:17]
	v_add_f64 v[69:70], v[69:70], v[88:89]
	v_add_f64 v[88:89], v[77:78], v[2:3]
	v_fma_f64 v[90:91], v[90:91], -0.5, v[2:3]
	v_add_f64 v[77:78], v[77:78], -v[18:19]
	v_fma_f64 v[2:3], v[79:80], -0.5, v[2:3]
	v_add_f64 v[79:80], v[32:33], v[12:13]
	v_add_f64 v[14:15], v[22:23], v[14:15]
	v_fma_f64 v[36:37], v[36:37], -0.5, v[10:11]
	v_add_f64 v[88:89], v[50:51], v[88:89]
	v_add_f64 v[50:51], v[50:51], -v[4:5]
	v_fma_f64 v[79:80], v[79:80], -0.5, v[10:11]
	v_add_f64 v[10:11], v[32:33], v[10:11]
	v_add_f64 v[32:33], v[32:33], -v[12:13]
	v_fma_f64 v[94:95], v[77:78], s[0:1], v[36:37]
	v_fma_f64 v[36:37], v[77:78], s[2:3], v[36:37]
	v_add_f64 v[4:5], v[4:5], v[88:89]
	v_fma_f64 v[92:93], v[50:51], s[2:3], v[79:80]
	v_fma_f64 v[79:80], v[50:51], s[0:1], v[79:80]
	v_add_f64 v[10:11], v[28:29], v[10:11]
	v_add_f64 v[28:29], v[28:29], -v[16:17]
	v_fma_f64 v[96:97], v[32:33], s[2:3], v[90:91]
	v_fma_f64 v[90:91], v[32:33], s[0:1], v[90:91]
	;; [unrolled: 1-line block ×3, first 2 shown]
	v_add_f64 v[4:5], v[18:19], v[4:5]
	v_fma_f64 v[92:93], v[77:78], s[4:5], v[92:93]
	v_fma_f64 v[77:78], v[77:78], s[6:7], v[79:80]
	v_add_f64 v[10:11], v[16:17], v[10:11]
	v_fma_f64 v[79:80], v[28:29], s[0:1], v[2:3]
	v_fma_f64 v[2:3], v[28:29], s[2:3], v[2:3]
	v_add_f64 v[16:17], v[20:21], v[34:35]
	v_fma_f64 v[36:37], v[75:76], s[8:9], v[36:37]
	v_add_f64 v[10:11], v[12:13], v[10:11]
	v_fma_f64 v[79:80], v[32:33], s[6:7], v[79:80]
	v_fma_f64 v[2:3], v[32:33], s[4:5], v[2:3]
	;; [unrolled: 1-line block ×9, first 2 shown]
	v_add_f64 v[12:13], v[6:7], v[16:17]
	v_add_f64 v[6:7], v[14:15], v[10:11]
	v_fma_f64 v[79:80], v[59:60], s[8:9], v[79:80]
	v_fma_f64 v[2:3], v[59:60], s[8:9], v[2:3]
	v_fma_f64 v[59:60], v[30:31], s[0:1], v[24:25]
	v_fma_f64 v[24:25], v[30:31], s[2:3], v[24:25]
	v_fma_f64 v[32:33], v[75:76], s[8:9], v[32:33]
	v_fma_f64 v[75:76], v[42:43], s[0:1], v[0:1]
	v_fma_f64 v[0:1], v[42:43], s[2:3], v[0:1]
	v_fma_f64 v[50:51], v[67:68], s[8:9], v[50:51]
	v_fma_f64 v[28:29], v[67:68], s[8:9], v[28:29]
	v_fma_f64 v[67:68], v[48:49], s[2:3], v[38:39]
	v_fma_f64 v[38:39], v[48:49], s[0:1], v[38:39]
	v_fma_f64 v[20:21], v[30:31], s[4:5], v[77:78]
	v_fma_f64 v[8:9], v[30:31], s[6:7], v[8:9]
	v_mul_f64 v[77:78], v[65:66], s[0:1]
	v_mul_f64 v[88:89], v[79:80], s[8:9]
	v_fma_f64 v[30:31], v[44:45], s[4:5], v[59:60]
	v_fma_f64 v[24:25], v[44:45], s[6:7], v[24:25]
	v_mul_f64 v[34:35], v[32:33], s[10:11]
	v_fma_f64 v[22:23], v[48:49], s[6:7], v[75:76]
	v_fma_f64 v[0:1], v[48:49], s[4:5], v[0:1]
	v_mul_f64 v[48:49], v[50:51], s[10:11]
	v_mul_f64 v[75:76], v[36:37], s[4:5]
	v_fma_f64 v[44:45], v[42:43], s[6:7], v[67:68]
	v_fma_f64 v[38:39], v[42:43], s[4:5], v[38:39]
	v_mul_f64 v[42:43], v[2:3], s[2:3]
	v_mul_f64 v[67:68], v[28:29], s[6:7]
	;; [unrolled: 1-line block ×3, first 2 shown]
	v_fma_f64 v[16:17], v[26:27], s[8:9], v[20:21]
	v_fma_f64 v[8:9], v[26:27], s[8:9], v[8:9]
	;; [unrolled: 1-line block ×4, first 2 shown]
	v_fma_f64 v[20:21], v[50:51], s[6:7], -v[34:35]
	v_fma_f64 v[92:93], v[69:70], s[8:9], v[22:23]
	v_fma_f64 v[69:70], v[69:70], s[8:9], v[0:1]
	v_fma_f64 v[48:49], v[32:33], s[4:5], -v[48:49]
	v_fma_f64 v[50:51], v[2:3], s[8:9], v[77:78]
	v_fma_f64 v[44:45], v[71:72], s[8:9], v[44:45]
	;; [unrolled: 1-line block ×6, first 2 shown]
	v_fma_f64 v[22:23], v[79:80], s[2:3], -v[59:60]
	v_fma_f64 v[58:59], v[90:91], s[0:1], -v[88:89]
	v_add_f64 v[0:1], v[12:13], -v[4:5]
	v_add_f64 v[4:5], v[12:13], v[4:5]
	v_add_f64 v[2:3], v[14:15], -v[10:11]
	v_add_co_u32 v65, vcc_lo, v98, v73
	v_add_co_ci_u32_e32 v66, vcc_lo, v99, v74, vcc_lo
	v_add_co_u32 v67, vcc_lo, v98, v81
	v_add_co_ci_u32_e32 v68, vcc_lo, v99, v82, vcc_lo
	v_add_f64 v[10:11], v[18:19], -v[20:21]
	v_add_f64 v[14:15], v[18:19], v[20:21]
	v_add_f64 v[24:25], v[69:70], v[50:51]
	;; [unrolled: 1-line block ×6, first 2 shown]
	v_add_f64 v[18:19], v[16:17], -v[22:23]
	v_add_f64 v[22:23], v[16:17], v[22:23]
	v_add_f64 v[20:21], v[92:93], v[58:59]
	v_add_f64 v[38:39], v[63:64], -v[36:37]
	v_add_f64 v[36:37], v[32:33], -v[42:43]
	;; [unrolled: 1-line block ×6, first 2 shown]
	v_add_co_u32 v42, vcc_lo, v98, v83
	v_add_co_ci_u32_e32 v43, vcc_lo, v99, v84, vcc_lo
	v_add_co_u32 v44, vcc_lo, v98, v56
	v_add_co_ci_u32_e32 v45, vcc_lo, v99, v57, vcc_lo
	;; [unrolled: 2-line block ×3, first 2 shown]
	global_store_dwordx4 v[52:53], v[4:7], off
	global_store_dwordx4 v[40:41], v[28:31], off
	;; [unrolled: 1-line block ×10, first 2 shown]
.LBB0_18:
	s_endpgm
	.section	.rodata,"a",@progbits
	.p2align	6, 0x0
	.amdhsa_kernel fft_rtc_fwd_len60_factors_6_10_wgs_60_tpt_10_halfLds_dp_op_CI_CI_sbrr_dirReg
		.amdhsa_group_segment_fixed_size 0
		.amdhsa_private_segment_fixed_size 0
		.amdhsa_kernarg_size 104
		.amdhsa_user_sgpr_count 6
		.amdhsa_user_sgpr_private_segment_buffer 1
		.amdhsa_user_sgpr_dispatch_ptr 0
		.amdhsa_user_sgpr_queue_ptr 0
		.amdhsa_user_sgpr_kernarg_segment_ptr 1
		.amdhsa_user_sgpr_dispatch_id 0
		.amdhsa_user_sgpr_flat_scratch_init 0
		.amdhsa_user_sgpr_private_segment_size 0
		.amdhsa_wavefront_size32 1
		.amdhsa_uses_dynamic_stack 0
		.amdhsa_system_sgpr_private_segment_wavefront_offset 0
		.amdhsa_system_sgpr_workgroup_id_x 1
		.amdhsa_system_sgpr_workgroup_id_y 0
		.amdhsa_system_sgpr_workgroup_id_z 0
		.amdhsa_system_sgpr_workgroup_info 0
		.amdhsa_system_vgpr_workitem_id 0
		.amdhsa_next_free_vgpr 100
		.amdhsa_next_free_sgpr 31
		.amdhsa_reserve_vcc 1
		.amdhsa_reserve_flat_scratch 0
		.amdhsa_float_round_mode_32 0
		.amdhsa_float_round_mode_16_64 0
		.amdhsa_float_denorm_mode_32 3
		.amdhsa_float_denorm_mode_16_64 3
		.amdhsa_dx10_clamp 1
		.amdhsa_ieee_mode 1
		.amdhsa_fp16_overflow 0
		.amdhsa_workgroup_processor_mode 1
		.amdhsa_memory_ordered 1
		.amdhsa_forward_progress 0
		.amdhsa_shared_vgpr_count 0
		.amdhsa_exception_fp_ieee_invalid_op 0
		.amdhsa_exception_fp_denorm_src 0
		.amdhsa_exception_fp_ieee_div_zero 0
		.amdhsa_exception_fp_ieee_overflow 0
		.amdhsa_exception_fp_ieee_underflow 0
		.amdhsa_exception_fp_ieee_inexact 0
		.amdhsa_exception_int_div_zero 0
	.end_amdhsa_kernel
	.text
.Lfunc_end0:
	.size	fft_rtc_fwd_len60_factors_6_10_wgs_60_tpt_10_halfLds_dp_op_CI_CI_sbrr_dirReg, .Lfunc_end0-fft_rtc_fwd_len60_factors_6_10_wgs_60_tpt_10_halfLds_dp_op_CI_CI_sbrr_dirReg
                                        ; -- End function
	.section	.AMDGPU.csdata,"",@progbits
; Kernel info:
; codeLenInByte = 4856
; NumSgprs: 33
; NumVgprs: 100
; ScratchSize: 0
; MemoryBound: 1
; FloatMode: 240
; IeeeMode: 1
; LDSByteSize: 0 bytes/workgroup (compile time only)
; SGPRBlocks: 4
; VGPRBlocks: 12
; NumSGPRsForWavesPerEU: 33
; NumVGPRsForWavesPerEU: 100
; Occupancy: 9
; WaveLimiterHint : 1
; COMPUTE_PGM_RSRC2:SCRATCH_EN: 0
; COMPUTE_PGM_RSRC2:USER_SGPR: 6
; COMPUTE_PGM_RSRC2:TRAP_HANDLER: 0
; COMPUTE_PGM_RSRC2:TGID_X_EN: 1
; COMPUTE_PGM_RSRC2:TGID_Y_EN: 0
; COMPUTE_PGM_RSRC2:TGID_Z_EN: 0
; COMPUTE_PGM_RSRC2:TIDIG_COMP_CNT: 0
	.text
	.p2alignl 6, 3214868480
	.fill 48, 4, 3214868480
	.type	__hip_cuid_405aa6d61b0955ae,@object ; @__hip_cuid_405aa6d61b0955ae
	.section	.bss,"aw",@nobits
	.globl	__hip_cuid_405aa6d61b0955ae
__hip_cuid_405aa6d61b0955ae:
	.byte	0                               ; 0x0
	.size	__hip_cuid_405aa6d61b0955ae, 1

	.ident	"AMD clang version 19.0.0git (https://github.com/RadeonOpenCompute/llvm-project roc-6.4.0 25133 c7fe45cf4b819c5991fe208aaa96edf142730f1d)"
	.section	".note.GNU-stack","",@progbits
	.addrsig
	.addrsig_sym __hip_cuid_405aa6d61b0955ae
	.amdgpu_metadata
---
amdhsa.kernels:
  - .args:
      - .actual_access:  read_only
        .address_space:  global
        .offset:         0
        .size:           8
        .value_kind:     global_buffer
      - .offset:         8
        .size:           8
        .value_kind:     by_value
      - .actual_access:  read_only
        .address_space:  global
        .offset:         16
        .size:           8
        .value_kind:     global_buffer
      - .actual_access:  read_only
        .address_space:  global
        .offset:         24
        .size:           8
        .value_kind:     global_buffer
      - .actual_access:  read_only
        .address_space:  global
        .offset:         32
        .size:           8
        .value_kind:     global_buffer
      - .offset:         40
        .size:           8
        .value_kind:     by_value
      - .actual_access:  read_only
        .address_space:  global
        .offset:         48
        .size:           8
        .value_kind:     global_buffer
      - .actual_access:  read_only
        .address_space:  global
        .offset:         56
        .size:           8
        .value_kind:     global_buffer
      - .offset:         64
        .size:           4
        .value_kind:     by_value
      - .actual_access:  read_only
        .address_space:  global
        .offset:         72
        .size:           8
        .value_kind:     global_buffer
      - .actual_access:  read_only
        .address_space:  global
        .offset:         80
        .size:           8
        .value_kind:     global_buffer
      - .actual_access:  read_only
        .address_space:  global
        .offset:         88
        .size:           8
        .value_kind:     global_buffer
      - .actual_access:  write_only
        .address_space:  global
        .offset:         96
        .size:           8
        .value_kind:     global_buffer
    .group_segment_fixed_size: 0
    .kernarg_segment_align: 8
    .kernarg_segment_size: 104
    .language:       OpenCL C
    .language_version:
      - 2
      - 0
    .max_flat_workgroup_size: 60
    .name:           fft_rtc_fwd_len60_factors_6_10_wgs_60_tpt_10_halfLds_dp_op_CI_CI_sbrr_dirReg
    .private_segment_fixed_size: 0
    .sgpr_count:     33
    .sgpr_spill_count: 0
    .symbol:         fft_rtc_fwd_len60_factors_6_10_wgs_60_tpt_10_halfLds_dp_op_CI_CI_sbrr_dirReg.kd
    .uniform_work_group_size: 1
    .uses_dynamic_stack: false
    .vgpr_count:     100
    .vgpr_spill_count: 0
    .wavefront_size: 32
    .workgroup_processor_mode: 1
amdhsa.target:   amdgcn-amd-amdhsa--gfx1030
amdhsa.version:
  - 1
  - 2
...

	.end_amdgpu_metadata
